;; amdgpu-corpus repo=ROCm/rocFFT kind=compiled arch=gfx906 opt=O3
	.text
	.amdgcn_target "amdgcn-amd-amdhsa--gfx906"
	.amdhsa_code_object_version 6
	.protected	fft_rtc_fwd_len160_factors_4_10_4_wgs_192_tpt_16_sp_op_CI_CI_sbcc_twdbase8_3step_dirReg ; -- Begin function fft_rtc_fwd_len160_factors_4_10_4_wgs_192_tpt_16_sp_op_CI_CI_sbcc_twdbase8_3step_dirReg
	.globl	fft_rtc_fwd_len160_factors_4_10_4_wgs_192_tpt_16_sp_op_CI_CI_sbcc_twdbase8_3step_dirReg
	.p2align	8
	.type	fft_rtc_fwd_len160_factors_4_10_4_wgs_192_tpt_16_sp_op_CI_CI_sbcc_twdbase8_3step_dirReg,@function
fft_rtc_fwd_len160_factors_4_10_4_wgs_192_tpt_16_sp_op_CI_CI_sbcc_twdbase8_3step_dirReg: ; @fft_rtc_fwd_len160_factors_4_10_4_wgs_192_tpt_16_sp_op_CI_CI_sbcc_twdbase8_3step_dirReg
; %bb.0:
	s_load_dwordx4 s[0:3], s[4:5], 0x18
	s_load_dwordx2 s[30:31], s[4:5], 0x28
	s_mov_b32 s7, 0
	s_mov_b64 s[28:29], 0
	s_waitcnt lgkmcnt(0)
	s_load_dwordx2 s[24:25], s[0:1], 0x8
	s_waitcnt lgkmcnt(0)
	s_add_u32 s8, s24, -1
	s_addc_u32 s9, s25, -1
	s_add_u32 s10, 0, 0x55540000
	s_addc_u32 s11, 0, 0x55
	s_mul_hi_u32 s13, s10, -12
	s_add_i32 s11, s11, 0x15555500
	s_sub_i32 s13, s13, s10
	s_mul_i32 s16, s11, -12
	s_mul_i32 s12, s10, -12
	s_add_i32 s13, s13, s16
	s_mul_hi_u32 s14, s11, s12
	s_mul_i32 s15, s11, s12
	s_mul_i32 s17, s10, s13
	s_mul_hi_u32 s12, s10, s12
	s_mul_hi_u32 s16, s10, s13
	s_add_u32 s12, s12, s17
	s_addc_u32 s16, 0, s16
	s_add_u32 s12, s12, s15
	s_mul_hi_u32 s17, s11, s13
	s_addc_u32 s12, s16, s14
	s_addc_u32 s14, s17, 0
	s_mul_i32 s13, s11, s13
	s_add_u32 s12, s12, s13
	v_mov_b32_e32 v1, s12
	s_addc_u32 s13, 0, s14
	v_add_co_u32_e32 v1, vcc, s10, v1
	s_cmp_lg_u64 vcc, 0
	s_addc_u32 s10, s11, s13
	v_readfirstlane_b32 s13, v1
	s_mul_i32 s12, s8, s10
	s_mul_hi_u32 s14, s8, s13
	s_mul_hi_u32 s11, s8, s10
	s_add_u32 s12, s14, s12
	s_addc_u32 s11, 0, s11
	s_mul_hi_u32 s15, s9, s13
	s_mul_i32 s13, s9, s13
	s_add_u32 s12, s12, s13
	s_mul_hi_u32 s14, s9, s10
	s_addc_u32 s11, s11, s15
	s_addc_u32 s12, s14, 0
	s_mul_i32 s10, s9, s10
	s_add_u32 s10, s11, s10
	s_addc_u32 s11, 0, s12
	s_add_u32 s12, s10, 1
	s_addc_u32 s13, s11, 0
	s_add_u32 s14, s10, 2
	s_mul_i32 s16, s11, 12
	s_mul_hi_u32 s17, s10, 12
	s_addc_u32 s15, s11, 0
	s_add_i32 s17, s17, s16
	s_mul_i32 s16, s10, 12
	v_mov_b32_e32 v1, s16
	v_sub_co_u32_e32 v1, vcc, s8, v1
	s_cmp_lg_u64 vcc, 0
	s_subb_u32 s8, s9, s17
	v_subrev_co_u32_e32 v2, vcc, 12, v1
	s_cmp_lg_u64 vcc, 0
	s_subb_u32 s9, s8, 0
	v_readfirstlane_b32 s16, v2
	s_cmp_gt_u32 s16, 11
	s_cselect_b32 s16, -1, 0
	s_cmp_eq_u32 s9, 0
	s_cselect_b32 s9, s16, -1
	s_cmp_lg_u32 s9, 0
	s_cselect_b32 s9, s14, s12
	s_cselect_b32 s12, s15, s13
	v_readfirstlane_b32 s13, v1
	s_cmp_gt_u32 s13, 11
	s_cselect_b32 s13, -1, 0
	s_cmp_eq_u32 s8, 0
	s_cselect_b32 s8, s13, -1
	s_cmp_lg_u32 s8, 0
	s_cselect_b32 s9, s9, s10
	s_cselect_b32 s8, s12, s11
	s_add_u32 s34, s9, 1
	s_addc_u32 s35, s8, 0
	v_mov_b32_e32 v1, s34
	v_mov_b32_e32 v2, s35
	v_cmp_lt_u64_e32 vcc, s[6:7], v[1:2]
	s_cbranch_vccnz .LBB0_2
; %bb.1:
	v_cvt_f32_u32_e32 v1, s34
	s_sub_i32 s8, 0, s34
	s_mov_b32 s29, s7
	v_rcp_iflag_f32_e32 v1, v1
	v_mul_f32_e32 v1, 0x4f7ffffe, v1
	v_cvt_u32_f32_e32 v1, v1
	v_readfirstlane_b32 s9, v1
	s_mul_i32 s8, s8, s9
	s_mul_hi_u32 s8, s9, s8
	s_add_i32 s9, s9, s8
	s_mul_hi_u32 s8, s6, s9
	s_mul_i32 s10, s8, s34
	s_sub_i32 s10, s6, s10
	s_add_i32 s9, s8, 1
	s_sub_i32 s11, s10, s34
	s_cmp_ge_u32 s10, s34
	s_cselect_b32 s8, s9, s8
	s_cselect_b32 s10, s11, s10
	s_add_i32 s9, s8, 1
	s_cmp_ge_u32 s10, s34
	s_cselect_b32 s28, s9, s8
.LBB0_2:
	s_load_dwordx4 s[12:15], s[4:5], 0x60
	s_load_dwordx4 s[20:23], s[2:3], 0x0
	;; [unrolled: 1-line block ×3, first 2 shown]
	s_load_dwordx2 s[26:27], s[4:5], 0x0
	s_load_dwordx4 s[16:19], s[4:5], 0x8
	s_mul_i32 s4, s28, s35
	s_mul_hi_u32 s5, s28, s34
	s_add_i32 s5, s5, s4
	s_mul_i32 s4, s28, s34
	s_sub_u32 s49, s6, s4
	s_subb_u32 s4, 0, s5
	s_mul_i32 s4, s4, 12
	s_mul_hi_u32 s50, s49, 12
	s_add_i32 s50, s50, s4
	s_mul_i32 s49, s49, 12
	s_waitcnt lgkmcnt(0)
	s_mul_i32 s4, s22, s50
	s_mul_hi_u32 s5, s22, s49
	s_add_i32 s4, s5, s4
	s_mul_i32 s5, s23, s49
	s_add_i32 s51, s4, s5
	s_mul_i32 s4, s10, s50
	s_mul_hi_u32 s5, s10, s49
	s_add_i32 s4, s5, s4
	s_mul_i32 s5, s11, s49
	s_add_i32 s33, s4, s5
	v_cmp_lt_u64_e64 s[4:5], s[18:19], 3
	s_mul_i32 s52, s22, s49
	s_mul_i32 s48, s10, s49
	s_and_b64 vcc, exec, s[4:5]
	s_cbranch_vccnz .LBB0_12
; %bb.3:
	s_add_u32 s4, s30, 16
	s_addc_u32 s5, s31, 0
	s_add_u32 s36, s2, 16
	s_addc_u32 s37, s3, 0
	s_add_u32 s38, s0, 16
	v_mov_b32_e32 v1, s18
	s_addc_u32 s39, s1, 0
	s_mov_b64 s[40:41], 2
	s_mov_b32 s42, 0
	v_mov_b32_e32 v2, s19
.LBB0_4:                                ; =>This Inner Loop Header: Depth=1
	s_load_dwordx2 s[44:45], s[38:39], 0x0
	s_waitcnt lgkmcnt(0)
	s_or_b64 s[0:1], s[28:29], s[44:45]
	s_mov_b32 s43, s1
	s_cmp_lg_u64 s[42:43], 0
	s_cbranch_scc0 .LBB0_9
; %bb.5:                                ;   in Loop: Header=BB0_4 Depth=1
	v_cvt_f32_u32_e32 v3, s44
	v_cvt_f32_u32_e32 v4, s45
	s_sub_u32 s0, 0, s44
	s_subb_u32 s1, 0, s45
	v_mac_f32_e32 v3, 0x4f800000, v4
	v_rcp_f32_e32 v3, v3
	v_mul_f32_e32 v3, 0x5f7ffffc, v3
	v_mul_f32_e32 v4, 0x2f800000, v3
	v_trunc_f32_e32 v4, v4
	v_mac_f32_e32 v3, 0xcf800000, v4
	v_cvt_u32_f32_e32 v4, v4
	v_cvt_u32_f32_e32 v3, v3
	v_readfirstlane_b32 s43, v4
	v_readfirstlane_b32 s46, v3
	s_mul_i32 s47, s0, s43
	s_mul_hi_u32 s54, s0, s46
	s_mul_i32 s53, s1, s46
	s_add_i32 s47, s54, s47
	s_mul_i32 s55, s0, s46
	s_add_i32 s47, s47, s53
	s_mul_hi_u32 s53, s46, s47
	s_mul_i32 s54, s46, s47
	s_mul_hi_u32 s46, s46, s55
	s_add_u32 s46, s46, s54
	s_addc_u32 s53, 0, s53
	s_mul_hi_u32 s56, s43, s55
	s_mul_i32 s55, s43, s55
	s_add_u32 s46, s46, s55
	s_mul_hi_u32 s54, s43, s47
	s_addc_u32 s46, s53, s56
	s_addc_u32 s53, s54, 0
	s_mul_i32 s47, s43, s47
	s_add_u32 s46, s46, s47
	s_addc_u32 s47, 0, s53
	v_add_co_u32_e32 v3, vcc, s46, v3
	s_cmp_lg_u64 vcc, 0
	s_addc_u32 s43, s43, s47
	v_readfirstlane_b32 s47, v3
	s_mul_i32 s46, s0, s43
	s_mul_hi_u32 s53, s0, s47
	s_add_i32 s46, s53, s46
	s_mul_i32 s1, s1, s47
	s_add_i32 s46, s46, s1
	s_mul_i32 s0, s0, s47
	s_mul_hi_u32 s53, s43, s0
	s_mul_i32 s54, s43, s0
	s_mul_i32 s56, s47, s46
	s_mul_hi_u32 s0, s47, s0
	s_mul_hi_u32 s55, s47, s46
	s_add_u32 s0, s0, s56
	s_addc_u32 s47, 0, s55
	s_add_u32 s0, s0, s54
	s_mul_hi_u32 s1, s43, s46
	s_addc_u32 s0, s47, s53
	s_addc_u32 s1, s1, 0
	s_mul_i32 s46, s43, s46
	s_add_u32 s0, s0, s46
	s_addc_u32 s1, 0, s1
	v_add_co_u32_e32 v3, vcc, s0, v3
	s_cmp_lg_u64 vcc, 0
	s_addc_u32 s0, s43, s1
	v_readfirstlane_b32 s46, v3
	s_mul_i32 s43, s28, s0
	s_mul_hi_u32 s47, s28, s46
	s_mul_hi_u32 s1, s28, s0
	s_add_u32 s43, s47, s43
	s_addc_u32 s1, 0, s1
	s_mul_hi_u32 s53, s29, s46
	s_mul_i32 s46, s29, s46
	s_add_u32 s43, s43, s46
	s_mul_hi_u32 s47, s29, s0
	s_addc_u32 s1, s1, s53
	s_addc_u32 s43, s47, 0
	s_mul_i32 s0, s29, s0
	s_add_u32 s46, s1, s0
	s_addc_u32 s43, 0, s43
	s_mul_i32 s0, s44, s43
	s_mul_hi_u32 s1, s44, s46
	s_add_i32 s0, s1, s0
	s_mul_i32 s1, s45, s46
	s_add_i32 s47, s0, s1
	s_mul_i32 s1, s44, s46
	v_mov_b32_e32 v3, s1
	s_sub_i32 s0, s29, s47
	v_sub_co_u32_e32 v3, vcc, s28, v3
	s_cmp_lg_u64 vcc, 0
	s_subb_u32 s53, s0, s45
	v_subrev_co_u32_e64 v4, s[0:1], s44, v3
	s_cmp_lg_u64 s[0:1], 0
	s_subb_u32 s0, s53, 0
	s_cmp_ge_u32 s0, s45
	v_readfirstlane_b32 s53, v4
	s_cselect_b32 s1, -1, 0
	s_cmp_ge_u32 s53, s44
	s_cselect_b32 s53, -1, 0
	s_cmp_eq_u32 s0, s45
	s_cselect_b32 s0, s53, s1
	s_add_u32 s1, s46, 1
	s_addc_u32 s53, s43, 0
	s_add_u32 s54, s46, 2
	s_addc_u32 s55, s43, 0
	s_cmp_lg_u32 s0, 0
	s_cselect_b32 s0, s54, s1
	s_cselect_b32 s1, s55, s53
	s_cmp_lg_u64 vcc, 0
	s_subb_u32 s47, s29, s47
	s_cmp_ge_u32 s47, s45
	v_readfirstlane_b32 s54, v3
	s_cselect_b32 s53, -1, 0
	s_cmp_ge_u32 s54, s44
	s_cselect_b32 s54, -1, 0
	s_cmp_eq_u32 s47, s45
	s_cselect_b32 s47, s54, s53
	s_cmp_lg_u32 s47, 0
	s_cselect_b32 s1, s1, s43
	s_cselect_b32 s0, s0, s46
	s_cbranch_execnz .LBB0_7
.LBB0_6:                                ;   in Loop: Header=BB0_4 Depth=1
	v_cvt_f32_u32_e32 v3, s44
	s_sub_i32 s0, 0, s44
	v_rcp_iflag_f32_e32 v3, v3
	v_mul_f32_e32 v3, 0x4f7ffffe, v3
	v_cvt_u32_f32_e32 v3, v3
	v_readfirstlane_b32 s1, v3
	s_mul_i32 s0, s0, s1
	s_mul_hi_u32 s0, s1, s0
	s_add_i32 s1, s1, s0
	s_mul_hi_u32 s0, s28, s1
	s_mul_i32 s43, s0, s44
	s_sub_i32 s43, s28, s43
	s_add_i32 s1, s0, 1
	s_sub_i32 s46, s43, s44
	s_cmp_ge_u32 s43, s44
	s_cselect_b32 s0, s1, s0
	s_cselect_b32 s43, s46, s43
	s_add_i32 s1, s0, 1
	s_cmp_ge_u32 s43, s44
	s_cselect_b32 s0, s1, s0
	s_mov_b32 s1, s42
.LBB0_7:                                ;   in Loop: Header=BB0_4 Depth=1
	s_mul_i32 s35, s44, s35
	s_mul_hi_u32 s43, s44, s34
	s_add_i32 s35, s43, s35
	s_mul_i32 s43, s45, s34
	s_add_i32 s35, s35, s43
	s_mul_i32 s43, s0, s45
	s_mul_hi_u32 s45, s0, s44
	s_load_dwordx2 s[46:47], s[36:37], 0x0
	s_add_i32 s43, s45, s43
	s_mul_i32 s45, s1, s44
	s_mul_i32 s34, s44, s34
	s_add_i32 s43, s43, s45
	s_mul_i32 s44, s0, s44
	s_sub_u32 s44, s28, s44
	s_subb_u32 s43, s29, s43
	s_waitcnt lgkmcnt(0)
	s_mul_i32 s28, s46, s43
	s_mul_hi_u32 s29, s46, s44
	s_add_i32 s45, s29, s28
	s_load_dwordx2 s[28:29], s[4:5], 0x0
	s_mul_i32 s47, s47, s44
	s_add_i32 s45, s45, s47
	s_mul_i32 s46, s46, s44
	s_add_u32 s52, s46, s52
	s_addc_u32 s51, s45, s51
	s_waitcnt lgkmcnt(0)
	s_mul_i32 s43, s28, s43
	s_mul_hi_u32 s45, s28, s44
	s_add_i32 s43, s45, s43
	s_mul_i32 s29, s29, s44
	s_add_i32 s43, s43, s29
	s_mul_i32 s28, s28, s44
	s_add_u32 s48, s28, s48
	s_addc_u32 s33, s43, s33
	s_add_u32 s40, s40, 1
	s_addc_u32 s41, s41, 0
	;; [unrolled: 2-line block ×4, first 2 shown]
	v_cmp_ge_u64_e32 vcc, s[40:41], v[1:2]
	s_add_u32 s38, s38, 8
	s_addc_u32 s39, s39, 0
	s_cbranch_vccnz .LBB0_10
; %bb.8:                                ;   in Loop: Header=BB0_4 Depth=1
	s_mov_b64 s[28:29], s[0:1]
	s_branch .LBB0_4
.LBB0_9:                                ;   in Loop: Header=BB0_4 Depth=1
                                        ; implicit-def: $sgpr0_sgpr1
	s_branch .LBB0_6
.LBB0_10:
	v_mov_b32_e32 v1, s34
	v_mov_b32_e32 v2, s35
	v_cmp_lt_u64_e32 vcc, s[6:7], v[1:2]
	s_mov_b64 s[28:29], 0
	s_cbranch_vccnz .LBB0_12
; %bb.11:
	v_cvt_f32_u32_e32 v1, s34
	s_sub_i32 s0, 0, s34
	v_rcp_iflag_f32_e32 v1, v1
	v_mul_f32_e32 v1, 0x4f7ffffe, v1
	v_cvt_u32_f32_e32 v1, v1
	v_readfirstlane_b32 s1, v1
	s_mul_i32 s0, s0, s1
	s_mul_hi_u32 s0, s1, s0
	s_add_i32 s1, s1, s0
	s_mul_hi_u32 s0, s6, s1
	s_mul_i32 s4, s0, s34
	s_sub_i32 s4, s6, s4
	s_add_i32 s1, s0, 1
	s_sub_i32 s5, s4, s34
	s_cmp_ge_u32 s4, s34
	s_cselect_b32 s0, s1, s0
	s_cselect_b32 s4, s5, s4
	s_add_i32 s1, s0, 1
	s_cmp_ge_u32 s4, s34
	s_cselect_b32 s28, s1, s0
.LBB0_12:
	s_lshl_b64 s[0:1], s[18:19], 3
	s_add_u32 s2, s2, s0
	s_addc_u32 s3, s3, s1
	s_load_dwordx2 s[2:3], s[2:3], 0x0
	v_mul_u32_u24_e32 v1, 0x1556, v0
	v_lshrrev_b32_e32 v58, 16, v1
	v_mul_lo_u16_e32 v1, 12, v58
	v_sub_u16_e32 v60, v0, v1
	s_waitcnt lgkmcnt(0)
	s_mul_i32 s3, s3, s28
	s_mul_hi_u32 s4, s2, s28
	s_mul_i32 s2, s2, s28
	s_add_i32 s4, s4, s3
	s_add_u32 s2, s2, s52
	s_addc_u32 s3, s4, s51
	s_add_u32 s0, s30, s0
	s_addc_u32 s1, s31, s1
	s_load_dwordx2 s[4:5], s[0:1], 0x0
	s_add_u32 s0, s49, 12
	v_mov_b32_e32 v1, s24
	s_addc_u32 s1, s50, 0
	v_mov_b32_e32 v2, s25
	v_mov_b32_e32 v3, s50
	v_cmp_le_u64_e64 s[0:1], s[0:1], v[1:2]
	v_add_co_u32_e32 v12, vcc, s49, v60
	v_addc_co_u32_e32 v13, vcc, 0, v3, vcc
	s_and_b64 vcc, exec, s[0:1]
	v_add_u32_e32 v59, 40, v58
	v_add_u32_e32 v11, 16, v58
	s_cbranch_vccz .LBB0_16
; %bb.13:
	v_mad_u64_u32 v[1:2], s[6:7], s22, v60, 0
	v_mad_u64_u32 v[3:4], s[6:7], s20, v58, 0
	v_add_u32_e32 v61, 16, v58
                                        ; implicit-def: $vgpr20
                                        ; implicit-def: $vgpr22
	v_mad_u64_u32 v[5:6], s[6:7], s23, v60, v[2:3]
	v_mov_b32_e32 v2, v4
	v_mad_u64_u32 v[6:7], s[6:7], s21, v58, v[2:3]
	s_lshl_b64 s[6:7], s[2:3], 3
	s_add_u32 s18, s12, s6
	s_addc_u32 s6, s13, s7
	v_mov_b32_e32 v2, v5
	v_mov_b32_e32 v4, v6
	;; [unrolled: 1-line block ×3, first 2 shown]
	v_mad_u64_u32 v[5:6], s[6:7], s20, v59, 0
	v_lshlrev_b64 v[1:2], 3, v[1:2]
	v_add_co_u32_e32 v21, vcc, s18, v1
	v_addc_co_u32_e32 v23, vcc, v7, v2, vcc
	v_lshlrev_b64 v[1:2], 3, v[3:4]
	v_mov_b32_e32 v3, v6
	v_mad_u64_u32 v[3:4], s[6:7], s21, v59, v[3:4]
	v_add_u32_e32 v4, 0x50, v58
	v_mad_u64_u32 v[7:8], s[6:7], s20, v4, 0
	v_add_co_u32_e32 v24, vcc, v21, v1
	v_mov_b32_e32 v6, v3
	v_mov_b32_e32 v3, v8
	v_addc_co_u32_e32 v25, vcc, v23, v2, vcc
	v_lshlrev_b64 v[1:2], 3, v[5:6]
	v_mad_u64_u32 v[3:4], s[6:7], s21, v4, v[3:4]
	v_add_u32_e32 v6, 0x78, v58
	v_mad_u64_u32 v[4:5], s[6:7], s20, v6, 0
	v_mov_b32_e32 v8, v3
	v_add_co_u32_e32 v26, vcc, v21, v1
	v_mov_b32_e32 v3, v5
	v_mad_u64_u32 v[5:6], s[6:7], s21, v6, v[3:4]
	v_addc_co_u32_e32 v27, vcc, v23, v2, vcc
	v_lshlrev_b64 v[1:2], 3, v[7:8]
	v_mad_u64_u32 v[6:7], s[6:7], s20, v61, 0
	v_add_co_u32_e32 v28, vcc, v21, v1
	v_mov_b32_e32 v3, v7
	v_addc_co_u32_e32 v29, vcc, v23, v2, vcc
	v_lshlrev_b64 v[1:2], 3, v[4:5]
	v_mad_u64_u32 v[3:4], s[6:7], s21, v61, v[3:4]
	v_add_u32_e32 v8, 56, v58
	v_mad_u64_u32 v[4:5], s[6:7], s20, v8, 0
	v_add_co_u32_e32 v30, vcc, v21, v1
	v_mov_b32_e32 v7, v3
	v_mov_b32_e32 v3, v5
	v_addc_co_u32_e32 v31, vcc, v23, v2, vcc
	v_lshlrev_b64 v[1:2], 3, v[6:7]
	v_mad_u64_u32 v[5:6], s[6:7], s21, v8, v[3:4]
	v_or_b32_e32 v8, 0x60, v58
	v_mad_u64_u32 v[6:7], s[6:7], s20, v8, 0
	v_add_co_u32_e32 v32, vcc, v21, v1
	v_mov_b32_e32 v3, v7
	v_addc_co_u32_e32 v33, vcc, v23, v2, vcc
	v_lshlrev_b64 v[1:2], 3, v[4:5]
	v_mad_u64_u32 v[3:4], s[6:7], s21, v8, v[3:4]
	v_add_u32_e32 v8, 0x88, v58
	v_mad_u64_u32 v[4:5], s[6:7], s20, v8, 0
	v_add_co_u32_e32 v34, vcc, v21, v1
	v_mov_b32_e32 v7, v3
	v_mov_b32_e32 v3, v5
	v_addc_co_u32_e32 v35, vcc, v23, v2, vcc
	v_lshlrev_b64 v[1:2], 3, v[6:7]
	v_mad_u64_u32 v[5:6], s[6:7], s21, v8, v[3:4]
	v_add_co_u32_e32 v36, vcc, v21, v1
	v_addc_co_u32_e32 v37, vcc, v23, v2, vcc
	v_lshlrev_b64 v[1:2], 3, v[4:5]
	s_movk_i32 s6, 0x60
	v_add_co_u32_e32 v38, vcc, v21, v1
	v_addc_co_u32_e32 v39, vcc, v23, v2, vcc
	global_load_dwordx2 v[7:8], v[24:25], off
	global_load_dwordx2 v[3:4], v[26:27], off
	;; [unrolled: 1-line block ×8, first 2 shown]
	v_cmp_gt_u32_e32 vcc, s6, v0
                                        ; implicit-def: $vgpr24
                                        ; implicit-def: $vgpr26
	s_and_saveexec_b64 s[6:7], vcc
	s_cbranch_execz .LBB0_15
; %bb.14:
	v_or_b32_e32 v22, 32, v58
	v_mad_u64_u32 v[24:25], s[18:19], s20, v22, 0
	v_add_u32_e32 v30, 0x48, v58
	v_mad_u64_u32 v[26:27], s[18:19], s20, v30, 0
	v_mov_b32_e32 v20, v25
	v_mad_u64_u32 v[28:29], s[18:19], s21, v22, v[20:21]
	v_mov_b32_e32 v20, v27
	v_or_b32_e32 v22, 0x70, v58
	v_mov_b32_e32 v25, v28
	v_mad_u64_u32 v[27:28], s[18:19], s21, v30, v[20:21]
	v_mad_u64_u32 v[28:29], s[18:19], s20, v22, 0
	v_lshlrev_b64 v[24:25], 3, v[24:25]
	v_add_co_u32_e32 v30, vcc, v21, v24
	v_mov_b32_e32 v20, v29
	v_addc_co_u32_e32 v31, vcc, v23, v25, vcc
	v_lshlrev_b64 v[24:25], 3, v[26:27]
	v_mad_u64_u32 v[26:27], s[18:19], s21, v22, v[20:21]
	v_add_u32_e32 v22, 0x98, v58
	v_mad_u64_u32 v[32:33], s[18:19], s20, v22, 0
	v_mov_b32_e32 v29, v26
	v_add_co_u32_e32 v34, vcc, v21, v24
	v_mov_b32_e32 v20, v33
	v_mad_u64_u32 v[26:27], s[18:19], s21, v22, v[20:21]
	v_addc_co_u32_e32 v35, vcc, v23, v25, vcc
	v_lshlrev_b64 v[24:25], 3, v[28:29]
	v_mov_b32_e32 v33, v26
	v_add_co_u32_e32 v28, vcc, v21, v24
	v_addc_co_u32_e32 v29, vcc, v23, v25, vcc
	v_lshlrev_b64 v[24:25], 3, v[32:33]
	v_add_co_u32_e32 v32, vcc, v21, v24
	v_addc_co_u32_e32 v33, vcc, v23, v25, vcc
	global_load_dwordx2 v[26:27], v[30:31], off
	global_load_dwordx2 v[22:23], v[34:35], off
	;; [unrolled: 1-line block ×4, first 2 shown]
.LBB0_15:
	s_or_b64 exec, exec, s[6:7]
	s_cbranch_execz .LBB0_17
	s_branch .LBB0_24
.LBB0_16:
                                        ; implicit-def: $vgpr1
                                        ; implicit-def: $vgpr9
                                        ; implicit-def: $vgpr20
                                        ; implicit-def: $vgpr24
                                        ; implicit-def: $vgpr22
                                        ; implicit-def: $vgpr26
                                        ; implicit-def: $vgpr18
                                        ; implicit-def: $vgpr14
                                        ; implicit-def: $vgpr16
                                        ; implicit-def: $vgpr5
                                        ; implicit-def: $vgpr61
                                        ; implicit-def: $vgpr3
                                        ; implicit-def: $vgpr7
.LBB0_17:
	v_cmp_le_u64_e32 vcc, s[24:25], v[12:13]
                                        ; implicit-def: $vgpr61
	s_and_saveexec_b64 s[6:7], vcc
	s_xor_b64 s[6:7], exec, s[6:7]
; %bb.18:
	v_add_u32_e32 v61, 16, v58
                                        ; implicit-def: $vgpr11
; %bb.19:
	s_or_saveexec_b64 s[6:7], s[6:7]
                                        ; implicit-def: $vgpr1
                                        ; implicit-def: $vgpr9
                                        ; implicit-def: $vgpr20
                                        ; implicit-def: $vgpr24
                                        ; implicit-def: $vgpr22
                                        ; implicit-def: $vgpr26
                                        ; implicit-def: $vgpr18
                                        ; implicit-def: $vgpr14
                                        ; implicit-def: $vgpr16
                                        ; implicit-def: $vgpr5
                                        ; implicit-def: $vgpr3
                                        ; implicit-def: $vgpr7
	s_xor_b64 exec, exec, s[6:7]
	s_cbranch_execz .LBB0_23
; %bb.20:
	s_waitcnt vmcnt(4)
	v_mad_u64_u32 v[1:2], s[18:19], s22, v60, 0
	v_mad_u64_u32 v[3:4], s[18:19], s20, v58, 0
	s_lshl_b64 s[2:3], s[2:3], 3
	s_add_u32 s12, s12, s2
	v_mad_u64_u32 v[5:6], s[18:19], s23, v60, v[2:3]
	v_mov_b32_e32 v2, v4
	v_mad_u64_u32 v[6:7], s[18:19], s21, v58, v[2:3]
	s_addc_u32 s2, s13, s3
	v_mov_b32_e32 v2, v5
	v_mov_b32_e32 v4, v6
	;; [unrolled: 1-line block ×3, first 2 shown]
	v_mad_u64_u32 v[5:6], s[2:3], s20, v59, 0
	v_lshlrev_b64 v[1:2], 3, v[1:2]
	s_waitcnt vmcnt(1)
	v_mad_u64_u32 v[18:19], s[2:3], s20, v11, 0
	s_waitcnt vmcnt(0)
	v_add_co_u32_e32 v21, vcc, s12, v1
	v_addc_co_u32_e32 v23, vcc, v7, v2, vcc
	v_lshlrev_b64 v[1:2], 3, v[3:4]
	v_mov_b32_e32 v3, v6
	v_mad_u64_u32 v[3:4], s[2:3], s21, v59, v[3:4]
	v_add_u32_e32 v4, 0x50, v58
	v_mad_u64_u32 v[7:8], s[2:3], s20, v4, 0
	v_add_co_u32_e32 v9, vcc, v21, v1
	v_mov_b32_e32 v6, v3
	v_mov_b32_e32 v3, v8
	v_addc_co_u32_e32 v10, vcc, v23, v2, vcc
	v_lshlrev_b64 v[1:2], 3, v[5:6]
	v_mad_u64_u32 v[3:4], s[2:3], s21, v4, v[3:4]
	v_add_u32_e32 v6, 0x78, v58
	v_mad_u64_u32 v[4:5], s[2:3], s20, v6, 0
	v_mov_b32_e32 v8, v3
	v_add_co_u32_e32 v14, vcc, v21, v1
	v_mov_b32_e32 v3, v5
	v_mad_u64_u32 v[5:6], s[2:3], s21, v6, v[3:4]
	v_addc_co_u32_e32 v15, vcc, v23, v2, vcc
	v_lshlrev_b64 v[1:2], 3, v[7:8]
                                        ; implicit-def: $vgpr22
	v_add_co_u32_e32 v16, vcc, v21, v1
	v_addc_co_u32_e32 v17, vcc, v23, v2, vcc
	v_lshlrev_b64 v[1:2], 3, v[4:5]
	v_add_co_u32_e32 v24, vcc, v21, v1
	v_mov_b32_e32 v1, v19
	v_mad_u64_u32 v[19:20], s[2:3], s21, v11, v[1:2]
	v_add_u32_e32 v20, 56, v58
	v_mad_u64_u32 v[26:27], s[2:3], s20, v20, 0
	v_addc_co_u32_e32 v25, vcc, v23, v2, vcc
	global_load_dwordx2 v[7:8], v[9:10], off
	global_load_dwordx2 v[3:4], v[14:15], off
	;; [unrolled: 1-line block ×4, first 2 shown]
	v_mov_b32_e32 v14, v27
	v_mad_u64_u32 v[14:15], s[2:3], s21, v20, v[14:15]
	v_or_b32_e32 v17, 0x60, v58
	v_mad_u64_u32 v[15:16], s[2:3], s20, v17, 0
	v_mov_b32_e32 v27, v14
	v_lshlrev_b64 v[9:10], 3, v[18:19]
	v_mov_b32_e32 v14, v16
	v_mad_u64_u32 v[16:17], s[2:3], s21, v17, v[14:15]
	v_add_u32_e32 v19, 0x88, v58
	v_mad_u64_u32 v[17:18], s[2:3], s20, v19, 0
	v_add_co_u32_e32 v24, vcc, v21, v9
	v_addc_co_u32_e32 v25, vcc, v23, v10, vcc
	v_lshlrev_b64 v[9:10], 3, v[26:27]
	v_mov_b32_e32 v14, v18
	v_add_co_u32_e32 v26, vcc, v21, v9
	v_addc_co_u32_e32 v27, vcc, v23, v10, vcc
	v_lshlrev_b64 v[9:10], 3, v[15:16]
	v_mad_u64_u32 v[14:15], s[2:3], s21, v19, v[14:15]
	v_add_co_u32_e32 v28, vcc, v21, v9
	v_mov_b32_e32 v18, v14
	v_addc_co_u32_e32 v29, vcc, v23, v10, vcc
	v_lshlrev_b64 v[9:10], 3, v[17:18]
	s_movk_i32 s2, 0x60
	v_add_co_u32_e32 v30, vcc, v21, v9
	v_addc_co_u32_e32 v31, vcc, v23, v10, vcc
	global_load_dwordx2 v[16:17], v[24:25], off
	global_load_dwordx2 v[14:15], v[26:27], off
	;; [unrolled: 1-line block ×4, first 2 shown]
	v_cmp_gt_u32_e32 vcc, s2, v0
                                        ; implicit-def: $vgpr20
                                        ; implicit-def: $vgpr24
                                        ; implicit-def: $vgpr26
	s_and_saveexec_b64 s[2:3], vcc
	s_cbranch_execz .LBB0_22
; %bb.21:
	v_or_b32_e32 v22, 32, v58
	v_mad_u64_u32 v[24:25], s[12:13], s20, v22, 0
	v_add_u32_e32 v30, 0x48, v58
	v_mad_u64_u32 v[26:27], s[12:13], s20, v30, 0
	v_mov_b32_e32 v20, v25
	v_mad_u64_u32 v[28:29], s[12:13], s21, v22, v[20:21]
	v_mov_b32_e32 v20, v27
	v_or_b32_e32 v22, 0x70, v58
	v_mov_b32_e32 v25, v28
	v_mad_u64_u32 v[27:28], s[12:13], s21, v30, v[20:21]
	v_mad_u64_u32 v[28:29], s[12:13], s20, v22, 0
	v_lshlrev_b64 v[24:25], 3, v[24:25]
	v_add_co_u32_e32 v30, vcc, v21, v24
	v_mov_b32_e32 v20, v29
	v_addc_co_u32_e32 v31, vcc, v23, v25, vcc
	v_lshlrev_b64 v[24:25], 3, v[26:27]
	v_mad_u64_u32 v[26:27], s[12:13], s21, v22, v[20:21]
	v_add_u32_e32 v22, 0x98, v58
	v_mad_u64_u32 v[32:33], s[12:13], s20, v22, 0
	v_mov_b32_e32 v29, v26
	v_add_co_u32_e32 v34, vcc, v21, v24
	v_mov_b32_e32 v20, v33
	v_mad_u64_u32 v[26:27], s[12:13], s21, v22, v[20:21]
	v_addc_co_u32_e32 v35, vcc, v23, v25, vcc
	v_lshlrev_b64 v[24:25], 3, v[28:29]
	v_mov_b32_e32 v33, v26
	v_add_co_u32_e32 v28, vcc, v21, v24
	v_addc_co_u32_e32 v29, vcc, v23, v25, vcc
	v_lshlrev_b64 v[24:25], 3, v[32:33]
	v_add_co_u32_e32 v32, vcc, v21, v24
	v_addc_co_u32_e32 v33, vcc, v23, v25, vcc
	global_load_dwordx2 v[26:27], v[30:31], off
	global_load_dwordx2 v[22:23], v[34:35], off
	;; [unrolled: 1-line block ×4, first 2 shown]
.LBB0_22:
	s_or_b64 exec, exec, s[2:3]
	v_mov_b32_e32 v61, v11
.LBB0_23:
	s_or_b64 exec, exec, s[6:7]
.LBB0_24:
	s_waitcnt vmcnt(5)
	v_sub_f32_e32 v6, v8, v6
	s_waitcnt vmcnt(4)
	v_sub_f32_e32 v1, v3, v1
	v_sub_f32_e32 v5, v7, v5
	;; [unrolled: 1-line block ×3, first 2 shown]
	v_add_f32_e32 v33, v6, v1
	v_fma_f32 v7, v7, 2.0, -v5
	v_fma_f32 v8, v8, 2.0, -v6
	;; [unrolled: 1-line block ×4, first 2 shown]
	v_sub_f32_e32 v32, v5, v2
	v_fma_f32 v35, v6, 2.0, -v33
	s_waitcnt vmcnt(1)
	v_sub_f32_e32 v2, v17, v19
	s_waitcnt vmcnt(0)
	v_sub_f32_e32 v6, v15, v10
	v_sub_f32_e32 v28, v7, v3
	;; [unrolled: 1-line block ×3, first 2 shown]
	v_fma_f32 v34, v5, 2.0, -v32
	v_sub_f32_e32 v1, v16, v18
	v_fma_f32 v4, v17, 2.0, -v2
	v_sub_f32_e32 v5, v14, v9
	v_fma_f32 v9, v15, 2.0, -v6
	v_fma_f32 v30, v7, 2.0, -v28
	;; [unrolled: 1-line block ×4, first 2 shown]
	v_sub_f32_e32 v9, v4, v9
	v_sub_f32_e32 v18, v1, v6
	v_fma_f32 v31, v8, 2.0, -v29
	v_sub_f32_e32 v8, v3, v7
	v_fma_f32 v11, v4, 2.0, -v9
	v_fma_f32 v36, v1, 2.0, -v18
	v_sub_f32_e32 v4, v26, v24
	v_sub_f32_e32 v1, v22, v20
	v_fma_f32 v10, v3, 2.0, -v8
	v_add_f32_e32 v19, v2, v5
	v_fma_f32 v5, v26, 2.0, -v4
	v_fma_f32 v3, v22, 2.0, -v1
	s_movk_i32 s2, 0x180
	v_sub_f32_e32 v14, v5, v3
	v_mul_lo_u32 v3, v61, s2
	v_sub_f32_e32 v6, v27, v25
	v_fma_f32 v37, v2, 2.0, -v19
	v_sub_f32_e32 v2, v23, v21
	v_add_f32_e32 v17, v6, v1
	v_mul_u32_u24_e32 v1, 48, v58
	v_fma_f32 v15, v23, 2.0, -v2
	v_sub_f32_e32 v16, v4, v2
	v_lshl_add_u32 v2, v1, 3, 0
	v_lshlrev_b32_e32 v1, 3, v60
	v_fma_f32 v7, v27, 2.0, -v6
	v_add_u32_e32 v20, v2, v1
	v_add_u32_e32 v3, 0, v3
	s_movk_i32 s2, 0x60
	v_sub_f32_e32 v15, v7, v15
	ds_write2_b64 v20, v[30:31], v[34:35] offset1:12
	ds_write2_b64 v20, v[28:29], v[32:33] offset0:24 offset1:36
	v_add_u32_e32 v20, v3, v1
	v_cmp_gt_u32_e64 s[2:3], s2, v0
	ds_write2_b64 v20, v[10:11], v[36:37] offset1:12
	ds_write2_b64 v20, v[8:9], v[18:19] offset0:24 offset1:36
	s_and_saveexec_b64 s[6:7], s[2:3]
	s_cbranch_execz .LBB0_26
; %bb.25:
	v_lshl_add_u32 v0, v60, 3, v2
	v_fma_f32 v9, v6, 2.0, -v17
	v_fma_f32 v8, v4, 2.0, -v16
	v_fma_f32 v6, v7, 2.0, -v15
	v_fma_f32 v5, v5, 2.0, -v14
	v_add_u32_e32 v0, 0x3000, v0
	ds_write2_b64 v0, v[5:6], v[8:9] offset1:12
	ds_write2_b64 v0, v[14:15], v[16:17] offset0:24 offset1:36
.LBB0_26:
	s_or_b64 exec, exec, s[6:7]
	v_and_b32_e32 v0, 3, v58
	v_mul_u32_u24_e32 v4, 9, v0
	v_lshlrev_b32_e32 v26, 3, v4
	s_waitcnt lgkmcnt(0)
	s_barrier
	global_load_dwordx4 v[4:7], v26, s[26:27] offset:16
	global_load_dwordx4 v[8:11], v26, s[26:27] offset:32
	;; [unrolled: 1-line block ×3, first 2 shown]
	global_load_dwordx4 v[22:25], v26, s[26:27]
	global_load_dwordx2 v[43:44], v26, s[26:27] offset:64
	v_mul_i32_i24_e32 v26, 0xfffffee0, v58
	s_movk_i32 s18, 0xfee0
	v_add3_u32 v26, v2, v26, v1
	v_mul_lo_u32 v2, v61, s18
	ds_read2st64_b64 v[27:30], v26 offset0:9 offset1:12
	ds_read2st64_b64 v[31:34], v26 offset0:15 offset1:18
	;; [unrolled: 1-line block ×3, first 2 shown]
	ds_read2st64_b64 v[39:42], v26 offset1:6
	s_mov_b32 s7, 0x3f737871
	s_mov_b32 s6, 0x3f167918
	v_add3_u32 v47, v3, v2, v1
	ds_read_b64 v[2:3], v47
	ds_read_b64 v[45:46], v26 offset:13824
	s_mov_b32 s12, 0xbf737871
	s_mov_b32 s13, 0xbf167918
	s_waitcnt vmcnt(0) lgkmcnt(0)
	s_barrier
	v_mul_f32_e32 v48, v5, v28
	v_mul_f32_e32 v5, v5, v27
	;; [unrolled: 1-line block ×15, first 2 shown]
	v_fma_f32 v27, v4, v27, -v48
	v_fmac_f32_e32 v5, v4, v28
	v_fma_f32 v4, v6, v29, -v49
	v_fmac_f32_e32 v7, v6, v30
	;; [unrolled: 2-line block ×3, first 2 shown]
	v_fma_f32 v8, v33, v10, -v51
	v_mul_f32_e32 v25, v25, v41
	v_fmac_f32_e32 v11, v34, v10
	v_fma_f32 v10, v35, v18, -v52
	v_fmac_f32_e32 v19, v36, v18
	v_fma_f32 v18, v37, v20, -v53
	;; [unrolled: 2-line block ×4, first 2 shown]
	v_add_f32_e32 v22, v4, v8
	v_fmac_f32_e32 v25, v24, v42
	v_sub_f32_e32 v29, v2, v4
	v_sub_f32_e32 v30, v18, v8
	;; [unrolled: 1-line block ×4, first 2 shown]
	v_fma_f32 v35, -0.5, v22, v39
	v_sub_f32_e32 v24, v25, v21
	v_add_f32_e32 v22, v29, v30
	v_add_f32_e32 v30, v32, v33
	v_mov_b32_e32 v32, v35
	v_sub_f32_e32 v28, v7, v11
	v_fmac_f32_e32 v35, 0xbf737871, v24
	v_fmac_f32_e32 v32, 0x3f737871, v24
	v_add_f32_e32 v31, v2, v18
	v_fmac_f32_e32 v35, 0xbf167918, v28
	v_fmac_f32_e32 v32, 0x3f167918, v28
	v_fma_f32 v29, -0.5, v31, v39
	v_fmac_f32_e32 v35, 0x3e9e377a, v22
	v_fmac_f32_e32 v32, 0x3e9e377a, v22
	v_add_f32_e32 v22, v40, v25
	v_mov_b32_e32 v33, v29
	v_add_f32_e32 v22, v22, v7
	v_fmac_f32_e32 v29, 0x3f737871, v28
	v_fmac_f32_e32 v33, 0xbf737871, v28
	v_add_f32_e32 v22, v22, v11
	v_add_f32_e32 v34, v39, v2
	v_fmac_f32_e32 v29, 0xbf167918, v24
	v_fmac_f32_e32 v33, 0x3f167918, v24
	v_add_f32_e32 v28, v22, v21
	v_add_f32_e32 v22, v7, v11
	v_add_f32_e32 v31, v34, v4
	v_fmac_f32_e32 v33, 0x3e9e377a, v30
	v_fmac_f32_e32 v29, 0x3e9e377a, v30
	v_fma_f32 v30, -0.5, v22, v40
	v_add_f32_e32 v31, v31, v8
	v_sub_f32_e32 v2, v2, v18
	v_mov_b32_e32 v34, v30
	v_add_f32_e32 v31, v31, v18
	v_fmac_f32_e32 v34, 0xbf737871, v2
	v_sub_f32_e32 v4, v4, v8
	v_sub_f32_e32 v8, v25, v7
	;; [unrolled: 1-line block ×3, first 2 shown]
	v_fmac_f32_e32 v30, 0x3f737871, v2
	v_fmac_f32_e32 v34, 0xbf167918, v4
	v_add_f32_e32 v8, v8, v18
	v_fmac_f32_e32 v30, 0x3f167918, v4
	v_fmac_f32_e32 v34, 0x3e9e377a, v8
	;; [unrolled: 1-line block ×3, first 2 shown]
	v_add_f32_e32 v8, v25, v21
	v_fma_f32 v36, -0.5, v8, v40
	v_mov_b32_e32 v37, v36
	v_fmac_f32_e32 v37, 0x3f737871, v4
	v_fmac_f32_e32 v36, 0xbf737871, v4
	;; [unrolled: 1-line block ×4, first 2 shown]
	v_add_f32_e32 v2, v20, v27
	v_mul_f32_e32 v56, v46, v44
	v_add_f32_e32 v2, v2, v6
	v_fma_f32 v3, v45, v43, -v56
	v_sub_f32_e32 v7, v7, v25
	v_sub_f32_e32 v8, v11, v21
	v_add_f32_e32 v2, v2, v10
	v_mul_f32_e32 v44, v45, v44
	v_add_f32_e32 v7, v7, v8
	v_add_f32_e32 v18, v2, v3
	;; [unrolled: 1-line block ×3, first 2 shown]
	v_fmac_f32_e32 v44, v46, v43
	v_fmac_f32_e32 v37, 0x3e9e377a, v7
	;; [unrolled: 1-line block ×3, first 2 shown]
	v_fma_f32 v7, -0.5, v2, v20
	v_sub_f32_e32 v2, v5, v44
	v_mov_b32_e32 v8, v7
	v_fmac_f32_e32 v8, 0x3f737871, v2
	v_sub_f32_e32 v4, v9, v19
	v_sub_f32_e32 v11, v27, v6
	;; [unrolled: 1-line block ×3, first 2 shown]
	v_fmac_f32_e32 v7, 0xbf737871, v2
	v_fmac_f32_e32 v8, 0x3f167918, v4
	v_add_f32_e32 v11, v11, v21
	v_fmac_f32_e32 v7, 0xbf167918, v4
	v_fmac_f32_e32 v8, 0x3e9e377a, v11
	;; [unrolled: 1-line block ×3, first 2 shown]
	v_add_f32_e32 v11, v27, v3
	v_fmac_f32_e32 v20, -0.5, v11
	v_mov_b32_e32 v11, v20
	v_fmac_f32_e32 v11, 0xbf737871, v4
	v_fmac_f32_e32 v20, 0x3f737871, v4
	;; [unrolled: 1-line block ×4, first 2 shown]
	v_add_f32_e32 v2, v23, v5
	v_sub_f32_e32 v21, v6, v27
	v_sub_f32_e32 v22, v10, v3
	v_add_f32_e32 v2, v2, v9
	v_add_f32_e32 v21, v21, v22
	;; [unrolled: 1-line block ×3, first 2 shown]
	v_fmac_f32_e32 v11, 0x3e9e377a, v21
	v_fmac_f32_e32 v20, 0x3e9e377a, v21
	v_add_f32_e32 v21, v2, v44
	v_add_f32_e32 v2, v9, v19
	v_fma_f32 v22, -0.5, v2, v23
	v_sub_f32_e32 v2, v27, v3
	v_mov_b32_e32 v3, v22
	v_fmac_f32_e32 v3, 0xbf737871, v2
	v_sub_f32_e32 v4, v6, v10
	v_sub_f32_e32 v6, v5, v9
	;; [unrolled: 1-line block ×3, first 2 shown]
	v_fmac_f32_e32 v22, 0x3f737871, v2
	v_fmac_f32_e32 v3, 0xbf167918, v4
	v_add_f32_e32 v6, v6, v10
	v_fmac_f32_e32 v22, 0x3f167918, v4
	v_fmac_f32_e32 v3, 0x3e9e377a, v6
	;; [unrolled: 1-line block ×3, first 2 shown]
	v_add_f32_e32 v6, v5, v44
	v_fmac_f32_e32 v23, -0.5, v6
	v_mov_b32_e32 v10, v23
	v_fmac_f32_e32 v10, 0x3f737871, v4
	v_sub_f32_e32 v5, v9, v5
	v_sub_f32_e32 v6, v19, v44
	v_fmac_f32_e32 v23, 0xbf737871, v4
	v_fmac_f32_e32 v10, 0xbf167918, v2
	v_add_f32_e32 v5, v5, v6
	v_fmac_f32_e32 v23, 0x3f167918, v2
	v_mul_f32_e32 v39, 0xbf167918, v8
	v_fmac_f32_e32 v10, 0x3e9e377a, v5
	v_fmac_f32_e32 v23, 0x3e9e377a, v5
	v_mul_f32_e32 v19, 0x3f167918, v3
	v_mul_f32_e32 v5, 0x3e9e377a, v20
	v_fmac_f32_e32 v39, 0x3f4f1bbd, v3
	v_mul_f32_e32 v3, 0x3f4f1bbd, v7
	v_fma_f32 v38, v23, s7, -v5
	v_fma_f32 v41, v22, s6, -v3
	v_mul_f32_e32 v3, 0x3e9e377a, v23
	v_add_f32_e32 v2, v31, v18
	v_fmac_f32_e32 v19, 0x3f4f1bbd, v8
	v_add_f32_e32 v8, v29, v38
	v_fma_f32 v42, v20, s12, -v3
	v_mul_f32_e32 v3, 0x3f4f1bbd, v22
	v_sub_f32_e32 v22, v31, v18
	v_sub_f32_e32 v18, v29, v38
	v_lshrrev_b32_e32 v29, 2, v58
	v_mul_u32_u24_e32 v29, 40, v29
	v_or_b32_e32 v0, v29, v0
	v_mul_f32_e32 v25, 0x3f737871, v10
	v_mul_f32_e32 v40, 0xbf737871, v11
	v_mul_u32_u24_e32 v0, 0x60, v0
	v_add_f32_e32 v4, v32, v19
	v_fmac_f32_e32 v25, 0x3e9e377a, v11
	v_fmac_f32_e32 v40, 0x3e9e377a, v10
	v_fma_f32 v43, v7, s13, -v3
	v_add_f32_e32 v3, v28, v21
	v_add_f32_e32 v5, v34, v39
	v_add3_u32 v0, 0, v0, v1
	v_add_f32_e32 v6, v33, v25
	v_add_f32_e32 v10, v35, v41
	;; [unrolled: 1-line block ×5, first 2 shown]
	v_sub_f32_e32 v24, v32, v19
	v_sub_f32_e32 v27, v33, v25
	;; [unrolled: 1-line block ×5, first 2 shown]
	ds_write2_b64 v0, v[2:3], v[4:5] offset1:48
	ds_write2_b64 v0, v[6:7], v[8:9] offset0:96 offset1:144
	ds_write2_b64 v0, v[10:11], v[22:23] offset0:192 offset1:240
	v_add_u32_e32 v0, 0x800, v0
	v_sub_f32_e32 v20, v35, v41
	v_sub_f32_e32 v19, v36, v42
	;; [unrolled: 1-line block ×3, first 2 shown]
	ds_write2_b64 v0, v[24:25], v[27:28] offset0:32 offset1:80
	ds_write2_b64 v0, v[18:19], v[20:21] offset0:128 offset1:176
	v_add_u32_e32 v0, 0x100, v26
	s_waitcnt lgkmcnt(0)
	s_barrier
	ds_read2st64_b64 v[8:11], v0 offset0:7 offset1:10
	ds_read2st64_b64 v[4:7], v26 offset0:15 offset1:18
	;; [unrolled: 1-line block ×3, first 2 shown]
	ds_read_b64 v[24:25], v26
	ds_read_b64 v[22:23], v47
	s_and_saveexec_b64 s[6:7], s[2:3]
	s_cbranch_execz .LBB0_28
; %bb.27:
	v_add_u32_e32 v16, 0xc00, v26
	ds_read_b64 v[20:21], v26 offset:6912
	ds_read_b64 v[14:15], v26 offset:10752
	ds_read_b64 v[18:19], v16
	ds_read_b64 v[16:17], v26 offset:14592
.LBB0_28:
	s_or_b64 exec, exec, s[6:7]
	v_mul_u32_u24_e32 v26, 3, v58
	s_movk_i32 s6, 0xcd
	v_lshlrev_b32_e32 v33, 3, v26
	v_mul_lo_u16_sdwa v26, v61, s6 dst_sel:DWORD dst_unused:UNUSED_PAD src0_sel:BYTE_0 src1_sel:DWORD
	v_lshrrev_b16_e32 v62, 13, v26
	global_load_dwordx4 v[27:30], v33, s[26:27] offset:288
	v_mul_lo_u16_e32 v26, 40, v62
	v_sub_u16_e32 v26, v61, v26
	v_and_b32_e32 v26, 0xff, v26
	v_mul_u32_u24_e32 v31, 3, v26
	v_lshlrev_b32_e32 v34, 3, v31
	global_load_dwordx4 v[35:38], v34, s[26:27] offset:288
	global_load_dwordx2 v[31:32], v33, s[26:27] offset:304
	global_load_dwordx2 v[39:40], v34, s[26:27] offset:304
	v_mul_lo_u32 v33, v12, v58
	v_mul_lo_u32 v47, v12, v59
	v_mov_b32_e32 v34, 3
	v_add_u32_e32 v64, 0x50, v58
	v_mul_lo_u32 v48, v12, v64
	v_lshlrev_b32_sdwa v49, v34, v33 dst_sel:DWORD dst_unused:UNUSED_PAD src0_sel:DWORD src1_sel:BYTE_0
	v_lshlrev_b32_sdwa v50, v34, v33 dst_sel:DWORD dst_unused:UNUSED_PAD src0_sel:DWORD src1_sel:BYTE_1
	v_lshlrev_b32_sdwa v52, v34, v47 dst_sel:DWORD dst_unused:UNUSED_PAD src0_sel:DWORD src1_sel:BYTE_1
	v_add_u32_e32 v63, 0x78, v58
	global_load_dwordx2 v[41:42], v49, s[16:17]
	global_load_dwordx2 v[43:44], v50, s[16:17] offset:2048
	global_load_dwordx2 v[45:46], v52, s[16:17] offset:2048
	v_lshlrev_b32_sdwa v51, v34, v47 dst_sel:DWORD dst_unused:UNUSED_PAD src0_sel:DWORD src1_sel:BYTE_0
	v_lshlrev_b32_sdwa v49, v34, v48 dst_sel:DWORD dst_unused:UNUSED_PAD src0_sel:DWORD src1_sel:BYTE_0
	s_mul_i32 s5, s5, s28
	s_mul_hi_u32 s6, s4, s28
	s_add_i32 s6, s6, s5
	s_mul_i32 s4, s4, s28
	s_add_u32 s4, s4, s48
	s_addc_u32 s5, s6, s33
	s_movk_i32 s6, 0x78
	s_andn2_b64 vcc, exec, s[0:1]
	s_waitcnt vmcnt(6) lgkmcnt(4)
	v_mul_f32_e32 v50, v28, v9
	v_mul_f32_e32 v52, v28, v8
	s_waitcnt lgkmcnt(3)
	v_mul_f32_e32 v28, v30, v5
	v_mul_f32_e32 v53, v30, v4
	v_fma_f32 v54, v29, v4, -v28
	v_fmac_f32_e32 v53, v29, v5
	v_mul_lo_u32 v29, v12, v63
	v_fma_f32 v50, v27, v8, -v50
	global_load_dwordx2 v[4:5], v51, s[16:17]
	s_waitcnt vmcnt(6)
	v_mul_f32_e32 v8, v36, v11
	v_mul_f32_e32 v51, v36, v10
	v_fmac_f32_e32 v52, v27, v9
	v_lshlrev_b32_sdwa v27, v34, v48 dst_sel:DWORD dst_unused:UNUSED_PAD src0_sel:DWORD src1_sel:BYTE_1
	v_fma_f32 v55, v35, v10, -v8
	v_fmac_f32_e32 v51, v35, v11
	global_load_dwordx2 v[8:9], v49, s[16:17]
	global_load_dwordx2 v[10:11], v27, s[16:17] offset:2048
	v_mul_f32_e32 v27, v38, v7
	v_mul_f32_e32 v49, v38, v6
	v_lshlrev_b32_sdwa v30, v34, v29 dst_sel:DWORD dst_unused:UNUSED_PAD src0_sel:DWORD src1_sel:BYTE_0
	v_fma_f32 v56, v37, v6, -v27
	v_fmac_f32_e32 v49, v37, v7
	v_lshlrev_b32_sdwa v35, v34, v29 dst_sel:DWORD dst_unused:UNUSED_PAD src0_sel:DWORD src1_sel:BYTE_1
	global_load_dwordx2 v[6:7], v30, s[16:17]
	global_load_dwordx2 v[27:28], v35, s[16:17] offset:2048
	v_mul_lo_u32 v30, v12, v26
	s_waitcnt vmcnt(9) lgkmcnt(2)
	v_mul_f32_e32 v35, v32, v1
	v_mul_f32_e32 v37, v32, v0
	v_fma_f32 v38, v31, v0, -v35
	v_fmac_f32_e32 v37, v31, v1
	s_waitcnt vmcnt(8)
	v_mul_f32_e32 v0, v40, v3
	v_mul_f32_e32 v57, v40, v2
	v_lshlrev_b32_sdwa v31, v34, v30 dst_sel:DWORD dst_unused:UNUSED_PAD src0_sel:DWORD src1_sel:BYTE_0
	v_fma_f32 v65, v39, v2, -v0
	v_fmac_f32_e32 v57, v39, v3
	v_lshlrev_b32_sdwa v32, v34, v30 dst_sel:DWORD dst_unused:UNUSED_PAD src0_sel:DWORD src1_sel:BYTE_1
	global_load_dwordx2 v[0:1], v31, s[16:17]
	global_load_dwordx2 v[2:3], v32, s[16:17] offset:2048
	v_add_u32_e32 v35, 40, v26
	v_mul_lo_u32 v35, v12, v35
	s_waitcnt vmcnt(8)
	v_mul_f32_e32 v31, v42, v44
	v_mul_f32_e32 v32, v41, v44
	v_fma_f32 v31, v41, v43, -v31
	v_lshlrev_b32_sdwa v36, v34, v35 dst_sel:DWORD dst_unused:UNUSED_PAD src0_sel:DWORD src1_sel:BYTE_0
	v_fmac_f32_e32 v32, v42, v43
	v_lshlrev_b32_sdwa v41, v34, v35 dst_sel:DWORD dst_unused:UNUSED_PAD src0_sel:DWORD src1_sel:BYTE_1
	s_waitcnt vmcnt(6)
	v_mul_f32_e32 v39, v5, v46
	v_mul_f32_e32 v40, v4, v46
	v_fma_f32 v39, v4, v45, -v39
	v_fmac_f32_e32 v40, v5, v45
	global_load_dwordx2 v[4:5], v36, s[16:17]
	s_waitcnt vmcnt(5)
	v_mul_f32_e32 v36, v9, v11
	v_mul_f32_e32 v42, v8, v11
	v_fma_f32 v43, v8, v10, -v36
	v_fmac_f32_e32 v42, v9, v10
	global_load_dwordx2 v[8:9], v41, s[16:17] offset:2048
	v_mov_b32_e32 v41, 0x1000
	v_bfe_u32 v10, v33, 16, 8
	v_lshl_or_b32 v10, v10, 3, v41
	s_waitcnt vmcnt(4)
	v_mul_f32_e32 v11, v7, v28
	v_mul_f32_e32 v33, v6, v28
	v_fma_f32 v44, v6, v27, -v11
	v_fmac_f32_e32 v33, v7, v27
	global_load_dwordx2 v[6:7], v10, s[16:17]
	v_bfe_u32 v10, v47, 16, 8
	v_lshl_or_b32 v10, v10, 3, v41
	global_load_dwordx2 v[10:11], v10, s[16:17]
	s_waitcnt vmcnt(4)
	v_mul_f32_e32 v27, v1, v3
	v_fma_f32 v45, v0, v2, -v27
	v_mul_f32_e32 v46, v0, v3
	v_bfe_u32 v0, v48, 16, 8
	v_fmac_f32_e32 v46, v1, v2
	v_lshl_or_b32 v0, v0, 3, v41
	v_bfe_u32 v2, v29, 16, 8
	global_load_dwordx2 v[0:1], v0, s[16:17]
	v_lshl_or_b32 v2, v2, 3, v41
	global_load_dwordx2 v[2:3], v2, s[16:17]
	v_bfe_u32 v27, v30, 16, 8
	v_lshl_or_b32 v27, v27, 3, v41
	s_waitcnt vmcnt(4)
	v_mul_f32_e32 v28, v5, v9
	v_fma_f32 v47, v4, v8, -v28
	v_mul_f32_e32 v48, v4, v9
	v_bfe_u32 v4, v35, 16, 8
	v_lshl_or_b32 v4, v4, 3, v41
	global_load_dwordx2 v[29:30], v4, s[16:17]
	v_add_u32_e32 v4, 0x50, v26
	v_fmac_f32_e32 v48, v5, v8
	v_mul_lo_u32 v8, v12, v4
	s_waitcnt vmcnt(4)
	v_mul_f32_e32 v4, v32, v7
	global_load_dwordx2 v[27:28], v27, s[16:17]
	v_fma_f32 v9, v6, v31, -v4
	v_mul_f32_e32 v5, v31, v7
	v_lshlrev_b32_sdwa v4, v34, v8 dst_sel:DWORD dst_unused:UNUSED_PAD src0_sel:DWORD src1_sel:BYTE_0
	s_waitcnt vmcnt(4)
	v_mul_f32_e32 v7, v40, v11
	v_mul_f32_e32 v11, v39, v11
	v_fmac_f32_e32 v5, v6, v32
	v_lshlrev_b32_sdwa v6, v34, v8 dst_sel:DWORD dst_unused:UNUSED_PAD src0_sel:DWORD src1_sel:BYTE_1
	v_fma_f32 v7, v10, v39, -v7
	v_fmac_f32_e32 v11, v10, v40
	global_load_dwordx2 v[31:32], v4, s[16:17]
	global_load_dwordx2 v[35:36], v6, s[16:17] offset:2048
	s_waitcnt vmcnt(5)
	v_mul_f32_e32 v4, v42, v1
	v_mul_f32_e32 v10, v43, v1
	v_fma_f32 v6, v0, v43, -v4
	v_fmac_f32_e32 v10, v0, v42
	s_waitcnt vmcnt(4)
	v_mul_f32_e32 v0, v33, v3
	v_mul_f32_e32 v43, v44, v3
	v_fma_f32 v42, v2, v44, -v0
	v_fmac_f32_e32 v43, v2, v33
	s_waitcnt lgkmcnt(1)
	v_sub_f32_e32 v0, v24, v54
	v_sub_f32_e32 v2, v25, v53
	v_fma_f32 v1, v24, 2.0, -v0
	v_fma_f32 v3, v25, 2.0, -v2
	v_sub_f32_e32 v24, v50, v38
	v_sub_f32_e32 v25, v52, v37
	v_fma_f32 v4, v50, 2.0, -v24
	v_fma_f32 v33, v52, 2.0, -v25
	;; [unrolled: 4-line block ×3, first 2 shown]
	v_mul_f32_e32 v4, v3, v5
	v_mul_f32_e32 v5, v1, v5
	v_fmac_f32_e32 v5, v3, v9
	v_add_u32_e32 v3, 0x78, v26
	v_sub_f32_e32 v50, v0, v25
	v_add_f32_e32 v52, v2, v24
	v_mul_lo_u32 v24, v12, v3
	v_fma_f32 v4, v1, v9, -v4
	v_fma_f32 v9, v0, 2.0, -v50
	v_bfe_u32 v0, v8, 16, 8
	v_lshl_or_b32 v0, v0, 3, v41
	global_load_dwordx2 v[0:1], v0, s[16:17]
	v_fma_f32 v25, v2, 2.0, -v52
	v_mul_f32_e32 v2, v25, v11
	v_lshlrev_b32_sdwa v26, v34, v24 dst_sel:DWORD dst_unused:UNUSED_PAD src0_sel:DWORD src1_sel:BYTE_0
	v_fma_f32 v8, v9, v7, -v2
	v_lshlrev_b32_sdwa v39, v34, v24 dst_sel:DWORD dst_unused:UNUSED_PAD src0_sel:DWORD src1_sel:BYTE_1
	global_load_dwordx2 v[2:3], v26, s[16:17]
	global_load_dwordx2 v[37:38], v39, s[16:17] offset:2048
	v_mul_f32_e32 v9, v9, v11
	v_bfe_u32 v11, v24, 16, 8
	v_lshl_or_b32 v11, v11, 3, v41
	global_load_dwordx2 v[39:40], v11, s[16:17]
	s_waitcnt lgkmcnt(0)
	v_sub_f32_e32 v26, v22, v56
	v_fmac_f32_e32 v9, v25, v7
	v_mul_f32_e32 v7, v33, v10
	v_mul_f32_e32 v25, v44, v10
	v_fma_f32 v10, v22, 2.0, -v26
	v_fma_f32 v24, v44, v6, -v7
	v_sub_f32_e32 v44, v23, v49
	v_fmac_f32_e32 v25, v33, v6
	v_mul_f32_e32 v6, v52, v43
	v_mul_f32_e32 v7, v50, v43
	v_fma_f32 v23, v23, 2.0, -v44
	v_fma_f32 v6, v50, v42, -v6
	v_fmac_f32_e32 v7, v52, v42
	s_waitcnt vmcnt(6)
	v_mul_f32_e32 v11, v46, v28
	v_fma_f32 v22, v27, v45, -v11
	v_mul_f32_e32 v11, v45, v28
	v_fmac_f32_e32 v11, v27, v46
	v_mul_f32_e32 v27, v48, v30
	v_fma_f32 v28, v29, v47, -v27
	v_mul_f32_e32 v27, v47, v30
	v_sub_f32_e32 v30, v51, v57
	v_fmac_f32_e32 v27, v29, v48
	v_sub_f32_e32 v29, v55, v65
	v_fma_f32 v43, v51, 2.0, -v30
	v_or_b32_e32 v65, 32, v58
	v_fma_f32 v33, v55, 2.0, -v29
	v_sub_f32_e32 v43, v23, v43
	v_mul_lo_u16_e32 v42, 13, v65
	v_sub_f32_e32 v33, v10, v33
	v_fma_f32 v23, v23, 2.0, -v43
	v_lshrrev_b16_e32 v42, 9, v42
	v_fma_f32 v45, v10, 2.0, -v33
	v_mul_f32_e32 v10, v23, v11
	v_mul_lo_u16_e32 v42, 40, v42
	v_add_f32_e32 v29, v44, v29
	v_fma_f32 v10, v45, v22, -v10
	v_mul_f32_e32 v11, v45, v11
	v_sub_u16_e32 v42, v65, v42
	v_sub_f32_e32 v45, v26, v30
	v_fma_f32 v44, v44, 2.0, -v29
	v_and_b32_e32 v42, 0xff, v42
	v_fma_f32 v30, v26, 2.0, -v45
	v_fmac_f32_e32 v11, v23, v22
	v_mul_f32_e32 v22, v44, v27
	v_fma_f32 v26, v30, v28, -v22
	v_mul_u32_u24_e32 v22, 3, v42
	v_lshlrev_b32_e32 v56, 3, v22
	s_waitcnt vmcnt(4)
	v_mul_f32_e32 v22, v32, v36
	v_mul_f32_e32 v23, v31, v36
	;; [unrolled: 1-line block ×3, first 2 shown]
	v_fma_f32 v22, v31, v35, -v22
	v_fmac_f32_e32 v23, v32, v35
	v_fmac_f32_e32 v27, v44, v28
	s_waitcnt vmcnt(3)
	v_mul_f32_e32 v28, v23, v1
	v_mul_f32_e32 v1, v22, v1
	v_fmac_f32_e32 v1, v0, v23
	v_fma_f32 v28, v0, v22, -v28
	v_mul_f32_e32 v0, v43, v1
	v_mul_f32_e32 v31, v33, v1
	s_waitcnt vmcnt(1)
	v_mul_f32_e32 v1, v2, v38
	v_fma_f32 v30, v33, v28, -v0
	v_mul_f32_e32 v0, v3, v38
	v_fmac_f32_e32 v1, v3, v37
	v_fma_f32 v0, v2, v37, -v0
	s_waitcnt vmcnt(0)
	v_mul_f32_e32 v2, v1, v40
	v_fma_f32 v2, v39, v0, -v2
	v_mul_f32_e32 v0, v0, v40
	v_fmac_f32_e32 v0, v39, v1
	v_mul_f32_e32 v1, v29, v0
	v_mul_lo_u32 v3, v12, v42
	v_fma_f32 v52, v45, v2, -v1
	v_add_u32_e32 v1, 40, v42
	v_mul_lo_u32 v1, v12, v1
	v_mul_f32_e32 v53, v45, v0
	v_fmac_f32_e32 v53, v29, v2
	v_lshlrev_b32_sdwa v0, v34, v3 dst_sel:DWORD dst_unused:UNUSED_PAD src0_sel:DWORD src1_sel:BYTE_0
	v_lshlrev_b32_sdwa v2, v34, v3 dst_sel:DWORD dst_unused:UNUSED_PAD src0_sel:DWORD src1_sel:BYTE_1
	v_bfe_u32 v3, v3, 16, 8
	v_fmac_f32_e32 v31, v43, v28
	v_lshl_or_b32 v3, v3, 3, v41
	v_lshlrev_b32_sdwa v35, v34, v1 dst_sel:DWORD dst_unused:UNUSED_PAD src0_sel:DWORD src1_sel:BYTE_0
	global_load_dwordx2 v[32:33], v0, s[16:17]
	global_load_dwordx2 v[36:37], v2, s[16:17] offset:2048
	global_load_dwordx2 v[28:29], v3, s[16:17]
	global_load_dwordx2 v[22:23], v35, s[16:17]
	v_add_u32_e32 v0, 0x50, v42
	v_lshlrev_b32_sdwa v57, v34, v1 dst_sel:DWORD dst_unused:UNUSED_PAD src0_sel:DWORD src1_sel:BYTE_1
	v_bfe_u32 v1, v1, 16, 8
	v_mul_lo_u32 v0, v12, v0
	v_lshl_or_b32 v66, v1, 3, v41
	v_add_u32_e32 v1, 0x78, v42
	v_mul_lo_u32 v1, v12, v1
	v_lshlrev_b32_sdwa v67, v34, v0 dst_sel:DWORD dst_unused:UNUSED_PAD src0_sel:DWORD src1_sel:BYTE_0
	v_lshlrev_b32_sdwa v68, v34, v0 dst_sel:DWORD dst_unused:UNUSED_PAD src0_sel:DWORD src1_sel:BYTE_1
	v_bfe_u32 v0, v0, 16, 8
	v_lshl_or_b32 v69, v0, 3, v41
	v_bfe_u32 v0, v1, 16, 8
	v_lshlrev_b32_sdwa v70, v34, v1 dst_sel:DWORD dst_unused:UNUSED_PAD src0_sel:DWORD src1_sel:BYTE_0
	v_lshlrev_b32_sdwa v71, v34, v1 dst_sel:DWORD dst_unused:UNUSED_PAD src0_sel:DWORD src1_sel:BYTE_1
	v_lshl_or_b32 v72, v0, 3, v41
	global_load_dwordx2 v[50:51], v57, s[16:17] offset:2048
	global_load_dwordx2 v[48:49], v66, s[16:17]
	global_load_dwordx2 v[44:45], v67, s[16:17]
	global_load_dwordx2 v[46:47], v68, s[16:17] offset:2048
	global_load_dwordx2 v[42:43], v69, s[16:17]
	global_load_dwordx2 v[38:39], v70, s[16:17]
	global_load_dwordx2 v[40:41], v71, s[16:17] offset:2048
	global_load_dwordx2 v[34:35], v72, s[16:17]
	global_load_dwordx2 v[54:55], v56, s[26:27] offset:304
	global_load_dwordx4 v[0:3], v56, s[26:27] offset:288
	s_cbranch_vccnz .LBB0_30
; %bb.29:
	v_mad_u64_u32 v[56:57], s[0:1], s10, v60, 0
	v_mad_u64_u32 v[66:67], s[0:1], s8, v58, 0
	;; [unrolled: 1-line block ×3, first 2 shown]
	v_mov_b32_e32 v57, v67
	v_mad_u64_u32 v[69:70], s[0:1], s9, v58, v[57:58]
	s_lshl_b64 s[0:1], s[4:5], 3
	s_add_u32 s7, s14, s0
	s_addc_u32 s0, s15, s1
	v_mov_b32_e32 v57, v68
	v_mov_b32_e32 v67, v69
	;; [unrolled: 1-line block ×3, first 2 shown]
	v_mad_u64_u32 v[68:69], s[0:1], s8, v59, 0
	v_lshlrev_b64 v[56:57], 3, v[56:57]
	v_lshlrev_b64 v[66:67], 3, v[66:67]
	v_add_co_u32_e32 v56, vcc, s7, v56
	v_addc_co_u32_e32 v57, vcc, v70, v57, vcc
	v_mad_u64_u32 v[69:70], s[0:1], s9, v59, v[69:70]
	v_add_co_u32_e32 v66, vcc, v56, v66
	v_addc_co_u32_e32 v67, vcc, v57, v67, vcc
	global_store_dwordx2 v[66:67], v[4:5], off
	v_lshlrev_b64 v[66:67], 3, v[68:69]
	v_mad_u64_u32 v[68:69], s[0:1], s8, v64, 0
	v_add_co_u32_e32 v66, vcc, v56, v66
	v_mad_u64_u32 v[69:70], s[0:1], s9, v64, v[69:70]
	v_mad_u64_u32 v[70:71], s[0:1], s8, v63, 0
	v_addc_co_u32_e32 v67, vcc, v57, v67, vcc
	v_mov_b32_e32 v64, v71
	v_mad_u64_u32 v[63:64], s[0:1], s9, v63, v[64:65]
	global_store_dwordx2 v[66:67], v[8:9], off
	v_lshlrev_b64 v[66:67], 3, v[68:69]
	v_mov_b32_e32 v71, v63
	v_add_co_u32_e32 v66, vcc, v56, v66
	v_addc_co_u32_e32 v67, vcc, v57, v67, vcc
	v_lshlrev_b64 v[63:64], 3, v[70:71]
	v_mad_u32_u24 v70, v62, s6, v61
	global_store_dwordx2 v[66:67], v[24:25], off
	v_mad_u64_u32 v[66:67], s[0:1], s8, v70, 0
	v_add_u32_e32 v71, 40, v70
	v_add_co_u32_e32 v63, vcc, v56, v63
	v_mad_u64_u32 v[67:68], s[0:1], s9, v70, v[67:68]
	v_mad_u64_u32 v[68:69], s[0:1], s8, v71, 0
	v_addc_co_u32_e32 v64, vcc, v57, v64, vcc
	global_store_dwordx2 v[63:64], v[6:7], off
	v_lshlrev_b64 v[63:64], 3, v[66:67]
	v_mov_b32_e32 v66, v69
	v_mad_u64_u32 v[66:67], s[0:1], s9, v71, v[66:67]
	v_add_co_u32_e32 v63, vcc, v56, v63
	v_addc_co_u32_e32 v64, vcc, v57, v64, vcc
	v_mov_b32_e32 v69, v66
	global_store_dwordx2 v[63:64], v[10:11], off
	v_lshlrev_b64 v[63:64], 3, v[68:69]
	v_add_u32_e32 v68, 0x50, v70
	v_mad_u64_u32 v[66:67], s[0:1], s8, v68, 0
	v_add_u32_e32 v70, 0x78, v70
	v_add_co_u32_e32 v63, vcc, v56, v63
	v_mad_u64_u32 v[67:68], s[0:1], s9, v68, v[67:68]
	v_mad_u64_u32 v[68:69], s[0:1], s8, v70, 0
	v_addc_co_u32_e32 v64, vcc, v57, v64, vcc
	global_store_dwordx2 v[63:64], v[26:27], off
	v_lshlrev_b64 v[63:64], 3, v[66:67]
	v_mov_b32_e32 v66, v69
	v_mad_u64_u32 v[66:67], s[0:1], s9, v70, v[66:67]
	v_add_co_u32_e32 v63, vcc, v56, v63
	v_addc_co_u32_e32 v64, vcc, v57, v64, vcc
	v_mov_b32_e32 v69, v66
	global_store_dwordx2 v[63:64], v[30:31], off
	v_lshlrev_b64 v[63:64], 3, v[68:69]
	v_add_co_u32_e32 v63, vcc, v56, v63
	v_addc_co_u32_e32 v64, vcc, v57, v64, vcc
	s_and_b64 s[0:1], s[2:3], exec
	global_store_dwordx2 v[63:64], v[52:53], off
	s_cbranch_execz .LBB0_31
	s_branch .LBB0_34
.LBB0_30:
	s_mov_b64 s[0:1], 0
                                        ; implicit-def: $vgpr56_vgpr57
.LBB0_31:
	v_cmp_gt_u64_e32 vcc, s[24:25], v[12:13]
                                        ; implicit-def: $vgpr56_vgpr57
	s_and_saveexec_b64 s[6:7], vcc
	s_cbranch_execz .LBB0_33
; %bb.32:
	v_mad_u64_u32 v[12:13], s[12:13], s10, v60, 0
	v_mad_u64_u32 v[63:64], s[12:13], s8, v58, 0
	;; [unrolled: 1-line block ×3, first 2 shown]
	v_mov_b32_e32 v13, v64
	v_mad_u64_u32 v[66:67], s[10:11], s9, v58, v[13:14]
	s_lshl_b64 s[4:5], s[4:5], 3
	s_add_u32 s10, s14, s4
	s_addc_u32 s4, s15, s5
	v_mov_b32_e32 v64, v66
	v_mov_b32_e32 v57, s4
	v_mad_u64_u32 v[66:67], s[4:5], s8, v59, 0
	v_mov_b32_e32 v13, v56
	v_lshlrev_b64 v[12:13], 3, v[12:13]
	v_mov_b32_e32 v60, v67
	v_add_co_u32_e32 v56, vcc, s10, v12
	v_mad_u64_u32 v[59:60], s[4:5], s9, v59, v[60:61]
	v_addc_co_u32_e32 v57, vcc, v57, v13, vcc
	v_lshlrev_b64 v[12:13], 3, v[63:64]
	v_mov_b32_e32 v67, v59
	v_add_co_u32_e32 v12, vcc, v56, v12
	v_addc_co_u32_e32 v13, vcc, v57, v13, vcc
	v_add_u32_e32 v59, 0x50, v58
	global_store_dwordx2 v[12:13], v[4:5], off
	v_mad_u64_u32 v[12:13], s[4:5], s8, v59, 0
	v_lshlrev_b64 v[4:5], 3, v[66:67]
	s_andn2_b64 s[0:1], s[0:1], exec
	v_mad_u64_u32 v[59:60], s[4:5], s9, v59, v[13:14]
	v_add_u32_e32 v60, 0x78, v58
	v_mad_u64_u32 v[63:64], s[4:5], s8, v60, 0
	v_add_co_u32_e32 v4, vcc, v56, v4
	v_addc_co_u32_e32 v5, vcc, v57, v5, vcc
	global_store_dwordx2 v[4:5], v[8:9], off
	v_mov_b32_e32 v8, v64
	v_mad_u64_u32 v[8:9], s[4:5], s9, v60, v[8:9]
	s_movk_i32 s4, 0x78
	v_mov_b32_e32 v13, v59
	v_mad_u32_u24 v59, v62, s4, v61
	v_mov_b32_e32 v64, v8
	v_mad_u64_u32 v[8:9], s[4:5], s8, v59, 0
	v_lshlrev_b64 v[4:5], 3, v[12:13]
	s_and_b64 s[2:3], s[2:3], exec
	v_add_co_u32_e32 v4, vcc, v56, v4
	v_mad_u64_u32 v[12:13], s[4:5], s9, v59, v[9:10]
	v_addc_co_u32_e32 v5, vcc, v57, v5, vcc
	v_add_u32_e32 v13, 40, v59
	global_store_dwordx2 v[4:5], v[24:25], off
	v_lshlrev_b64 v[4:5], 3, v[63:64]
	v_mad_u64_u32 v[24:25], s[4:5], s8, v13, 0
	v_add_co_u32_e32 v4, vcc, v56, v4
	v_addc_co_u32_e32 v5, vcc, v57, v5, vcc
	global_store_dwordx2 v[4:5], v[6:7], off
	v_mov_b32_e32 v6, v25
	v_mad_u64_u32 v[6:7], s[4:5], s9, v13, v[6:7]
	v_mov_b32_e32 v9, v12
	v_lshlrev_b64 v[4:5], 3, v[8:9]
	v_add_u32_e32 v8, 0x50, v59
	v_mov_b32_e32 v25, v6
	v_mad_u64_u32 v[6:7], s[4:5], s8, v8, 0
	v_add_co_u32_e32 v4, vcc, v56, v4
	v_addc_co_u32_e32 v5, vcc, v57, v5, vcc
	global_store_dwordx2 v[4:5], v[10:11], off
	v_mad_u64_u32 v[7:8], s[4:5], s9, v8, v[7:8]
	v_add_u32_e32 v10, 0x78, v59
	v_lshlrev_b64 v[4:5], 3, v[24:25]
	v_mad_u64_u32 v[8:9], s[4:5], s8, v10, 0
	v_add_co_u32_e32 v4, vcc, v56, v4
	v_addc_co_u32_e32 v5, vcc, v57, v5, vcc
	global_store_dwordx2 v[4:5], v[26:27], off
	v_lshlrev_b64 v[4:5], 3, v[6:7]
	v_mov_b32_e32 v6, v9
	v_mad_u64_u32 v[6:7], s[4:5], s9, v10, v[6:7]
	v_add_co_u32_e32 v4, vcc, v56, v4
	v_addc_co_u32_e32 v5, vcc, v57, v5, vcc
	v_mov_b32_e32 v9, v6
	global_store_dwordx2 v[4:5], v[30:31], off
	v_lshlrev_b64 v[4:5], 3, v[8:9]
	s_or_b64 s[0:1], s[0:1], s[2:3]
	v_add_co_u32_e32 v4, vcc, v56, v4
	v_addc_co_u32_e32 v5, vcc, v57, v5, vcc
	global_store_dwordx2 v[4:5], v[52:53], off
.LBB0_33:
	s_or_b64 exec, exec, s[6:7]
.LBB0_34:
	s_and_saveexec_b64 s[2:3], s[0:1]
	s_cbranch_execnz .LBB0_36
; %bb.35:
	s_endpgm
.LBB0_36:
	s_waitcnt vmcnt(0)
	v_mul_f32_e32 v4, v21, v1
	v_mul_f32_e32 v1, v20, v1
	v_fma_f32 v4, v20, v0, -v4
	v_fmac_f32_e32 v1, v21, v0
	v_mul_f32_e32 v0, v15, v3
	v_mul_f32_e32 v5, v16, v55
	v_fma_f32 v0, v14, v2, -v0
	v_mul_f32_e32 v3, v14, v3
	v_fmac_f32_e32 v5, v17, v54
	v_fmac_f32_e32 v3, v15, v2
	v_mul_f32_e32 v2, v17, v55
	v_sub_f32_e32 v0, v18, v0
	v_sub_f32_e32 v5, v1, v5
	v_fma_f32 v2, v16, v54, -v2
	v_sub_f32_e32 v3, v19, v3
	v_sub_f32_e32 v10, v0, v5
	v_fma_f32 v6, v18, 2.0, -v0
	v_fma_f32 v7, v19, 2.0, -v3
	v_sub_f32_e32 v2, v4, v2
	v_fma_f32 v1, v1, 2.0, -v5
	v_fma_f32 v5, v0, 2.0, -v10
	v_mul_f32_e32 v0, v33, v37
	v_fma_f32 v4, v4, 2.0, -v2
	v_sub_f32_e32 v9, v7, v1
	v_add_f32_e32 v13, v3, v2
	v_fma_f32 v0, v32, v36, -v0
	v_mul_f32_e32 v2, v32, v37
	v_sub_f32_e32 v8, v6, v4
	v_fma_f32 v4, v7, 2.0, -v9
	v_fmac_f32_e32 v2, v33, v36
	v_mul_f32_e32 v7, v0, v29
	v_fma_f32 v1, v6, 2.0, -v8
	v_fma_f32 v6, v3, 2.0, -v13
	v_mul_f32_e32 v3, v2, v29
	v_fmac_f32_e32 v7, v28, v2
	v_fma_f32 v3, v28, v0, -v3
	v_mul_f32_e32 v0, v4, v7
	v_fma_f32 v0, v1, v3, -v0
	v_mul_f32_e32 v1, v1, v7
	v_mul_f32_e32 v2, v23, v51
	v_fmac_f32_e32 v1, v4, v3
	v_fma_f32 v2, v22, v50, -v2
	v_mul_f32_e32 v3, v22, v51
	v_fmac_f32_e32 v3, v23, v50
	v_mul_f32_e32 v7, v2, v49
	v_mul_f32_e32 v4, v3, v49
	v_fmac_f32_e32 v7, v48, v3
	v_fma_f32 v4, v48, v2, -v4
	v_mul_f32_e32 v2, v6, v7
	v_mul_f32_e32 v3, v5, v7
	v_fma_f32 v2, v5, v4, -v2
	v_fmac_f32_e32 v3, v6, v4
	v_mul_f32_e32 v4, v45, v47
	v_fma_f32 v4, v44, v46, -v4
	v_mul_f32_e32 v5, v44, v47
	v_fmac_f32_e32 v5, v45, v46
	v_mul_f32_e32 v7, v4, v43
	v_mul_f32_e32 v6, v5, v43
	v_fmac_f32_e32 v7, v42, v5
	v_fma_f32 v6, v42, v4, -v6
	v_mul_f32_e32 v4, v9, v7
	v_mul_f32_e32 v5, v8, v7
	v_fma_f32 v4, v8, v6, -v4
	v_fmac_f32_e32 v5, v9, v6
	v_mul_f32_e32 v6, v39, v41
	v_mul_f32_e32 v7, v38, v41
	v_fma_f32 v6, v38, v40, -v6
	v_fmac_f32_e32 v7, v39, v40
	;; [unrolled: 4-line block ×3, first 2 shown]
	v_mad_u64_u32 v[6:7], s[0:1], s8, v65, 0
	v_mul_f32_e32 v8, v13, v9
	v_fma_f32 v8, v10, v14, -v8
	v_mul_f32_e32 v9, v10, v9
	v_mad_u64_u32 v[10:11], s[0:1], s9, v65, v[7:8]
	v_add_u32_e32 v15, 0x48, v58
	v_mad_u64_u32 v[11:12], s[0:1], s8, v15, 0
	v_mov_b32_e32 v7, v10
	v_lshlrev_b64 v[6:7], 3, v[6:7]
	v_mov_b32_e32 v10, v12
	v_add_co_u32_e32 v6, vcc, v56, v6
	v_fmac_f32_e32 v9, v13, v14
	v_mad_u64_u32 v[12:13], s[0:1], s9, v15, v[10:11]
	v_addc_co_u32_e32 v7, vcc, v57, v7, vcc
	v_or_b32_e32 v10, 0x70, v58
	global_store_dwordx2 v[6:7], v[0:1], off
	v_mad_u64_u32 v[6:7], s[0:1], s8, v10, 0
	v_lshlrev_b64 v[0:1], 3, v[11:12]
	v_add_u32_e32 v13, 0x98, v58
	v_mad_u64_u32 v[10:11], s[0:1], s9, v10, v[7:8]
	v_mad_u64_u32 v[11:12], s[0:1], s8, v13, 0
	v_add_co_u32_e32 v0, vcc, v56, v0
	v_addc_co_u32_e32 v1, vcc, v57, v1, vcc
	global_store_dwordx2 v[0:1], v[2:3], off
	v_mov_b32_e32 v2, v12
	v_mov_b32_e32 v7, v10
	v_mad_u64_u32 v[2:3], s[0:1], s9, v13, v[2:3]
	v_lshlrev_b64 v[0:1], 3, v[6:7]
	v_add_co_u32_e32 v0, vcc, v56, v0
	v_addc_co_u32_e32 v1, vcc, v57, v1, vcc
	v_mov_b32_e32 v12, v2
	global_store_dwordx2 v[0:1], v[4:5], off
	v_lshlrev_b64 v[0:1], 3, v[11:12]
	v_add_co_u32_e32 v0, vcc, v56, v0
	v_addc_co_u32_e32 v1, vcc, v57, v1, vcc
	global_store_dwordx2 v[0:1], v[8:9], off
	s_endpgm
	.section	.rodata,"a",@progbits
	.p2align	6, 0x0
	.amdhsa_kernel fft_rtc_fwd_len160_factors_4_10_4_wgs_192_tpt_16_sp_op_CI_CI_sbcc_twdbase8_3step_dirReg
		.amdhsa_group_segment_fixed_size 0
		.amdhsa_private_segment_fixed_size 0
		.amdhsa_kernarg_size 112
		.amdhsa_user_sgpr_count 6
		.amdhsa_user_sgpr_private_segment_buffer 1
		.amdhsa_user_sgpr_dispatch_ptr 0
		.amdhsa_user_sgpr_queue_ptr 0
		.amdhsa_user_sgpr_kernarg_segment_ptr 1
		.amdhsa_user_sgpr_dispatch_id 0
		.amdhsa_user_sgpr_flat_scratch_init 0
		.amdhsa_user_sgpr_private_segment_size 0
		.amdhsa_uses_dynamic_stack 0
		.amdhsa_system_sgpr_private_segment_wavefront_offset 0
		.amdhsa_system_sgpr_workgroup_id_x 1
		.amdhsa_system_sgpr_workgroup_id_y 0
		.amdhsa_system_sgpr_workgroup_id_z 0
		.amdhsa_system_sgpr_workgroup_info 0
		.amdhsa_system_vgpr_workitem_id 0
		.amdhsa_next_free_vgpr 73
		.amdhsa_next_free_sgpr 57
		.amdhsa_reserve_vcc 1
		.amdhsa_reserve_flat_scratch 0
		.amdhsa_float_round_mode_32 0
		.amdhsa_float_round_mode_16_64 0
		.amdhsa_float_denorm_mode_32 3
		.amdhsa_float_denorm_mode_16_64 3
		.amdhsa_dx10_clamp 1
		.amdhsa_ieee_mode 1
		.amdhsa_fp16_overflow 0
		.amdhsa_exception_fp_ieee_invalid_op 0
		.amdhsa_exception_fp_denorm_src 0
		.amdhsa_exception_fp_ieee_div_zero 0
		.amdhsa_exception_fp_ieee_overflow 0
		.amdhsa_exception_fp_ieee_underflow 0
		.amdhsa_exception_fp_ieee_inexact 0
		.amdhsa_exception_int_div_zero 0
	.end_amdhsa_kernel
	.text
.Lfunc_end0:
	.size	fft_rtc_fwd_len160_factors_4_10_4_wgs_192_tpt_16_sp_op_CI_CI_sbcc_twdbase8_3step_dirReg, .Lfunc_end0-fft_rtc_fwd_len160_factors_4_10_4_wgs_192_tpt_16_sp_op_CI_CI_sbcc_twdbase8_3step_dirReg
                                        ; -- End function
	.section	.AMDGPU.csdata,"",@progbits
; Kernel info:
; codeLenInByte = 8472
; NumSgprs: 61
; NumVgprs: 73
; ScratchSize: 0
; MemoryBound: 0
; FloatMode: 240
; IeeeMode: 1
; LDSByteSize: 0 bytes/workgroup (compile time only)
; SGPRBlocks: 7
; VGPRBlocks: 18
; NumSGPRsForWavesPerEU: 61
; NumVGPRsForWavesPerEU: 73
; Occupancy: 3
; WaveLimiterHint : 1
; COMPUTE_PGM_RSRC2:SCRATCH_EN: 0
; COMPUTE_PGM_RSRC2:USER_SGPR: 6
; COMPUTE_PGM_RSRC2:TRAP_HANDLER: 0
; COMPUTE_PGM_RSRC2:TGID_X_EN: 1
; COMPUTE_PGM_RSRC2:TGID_Y_EN: 0
; COMPUTE_PGM_RSRC2:TGID_Z_EN: 0
; COMPUTE_PGM_RSRC2:TIDIG_COMP_CNT: 0
	.type	__hip_cuid_36f08004ddc3f872,@object ; @__hip_cuid_36f08004ddc3f872
	.section	.bss,"aw",@nobits
	.globl	__hip_cuid_36f08004ddc3f872
__hip_cuid_36f08004ddc3f872:
	.byte	0                               ; 0x0
	.size	__hip_cuid_36f08004ddc3f872, 1

	.ident	"AMD clang version 19.0.0git (https://github.com/RadeonOpenCompute/llvm-project roc-6.4.0 25133 c7fe45cf4b819c5991fe208aaa96edf142730f1d)"
	.section	".note.GNU-stack","",@progbits
	.addrsig
	.addrsig_sym __hip_cuid_36f08004ddc3f872
	.amdgpu_metadata
---
amdhsa.kernels:
  - .args:
      - .actual_access:  read_only
        .address_space:  global
        .offset:         0
        .size:           8
        .value_kind:     global_buffer
      - .address_space:  global
        .offset:         8
        .size:           8
        .value_kind:     global_buffer
      - .offset:         16
        .size:           8
        .value_kind:     by_value
      - .actual_access:  read_only
        .address_space:  global
        .offset:         24
        .size:           8
        .value_kind:     global_buffer
      - .actual_access:  read_only
        .address_space:  global
        .offset:         32
        .size:           8
        .value_kind:     global_buffer
      - .actual_access:  read_only
        .address_space:  global
        .offset:         40
        .size:           8
        .value_kind:     global_buffer
      - .offset:         48
        .size:           8
        .value_kind:     by_value
      - .actual_access:  read_only
        .address_space:  global
        .offset:         56
        .size:           8
        .value_kind:     global_buffer
      - .actual_access:  read_only
        .address_space:  global
        .offset:         64
        .size:           8
        .value_kind:     global_buffer
      - .offset:         72
        .size:           4
        .value_kind:     by_value
      - .actual_access:  read_only
        .address_space:  global
        .offset:         80
        .size:           8
        .value_kind:     global_buffer
      - .actual_access:  read_only
        .address_space:  global
        .offset:         88
        .size:           8
        .value_kind:     global_buffer
      - .actual_access:  read_only
        .address_space:  global
        .offset:         96
        .size:           8
        .value_kind:     global_buffer
      - .actual_access:  write_only
        .address_space:  global
        .offset:         104
        .size:           8
        .value_kind:     global_buffer
    .group_segment_fixed_size: 0
    .kernarg_segment_align: 8
    .kernarg_segment_size: 112
    .language:       OpenCL C
    .language_version:
      - 2
      - 0
    .max_flat_workgroup_size: 192
    .name:           fft_rtc_fwd_len160_factors_4_10_4_wgs_192_tpt_16_sp_op_CI_CI_sbcc_twdbase8_3step_dirReg
    .private_segment_fixed_size: 0
    .sgpr_count:     61
    .sgpr_spill_count: 0
    .symbol:         fft_rtc_fwd_len160_factors_4_10_4_wgs_192_tpt_16_sp_op_CI_CI_sbcc_twdbase8_3step_dirReg.kd
    .uniform_work_group_size: 1
    .uses_dynamic_stack: false
    .vgpr_count:     73
    .vgpr_spill_count: 0
    .wavefront_size: 64
amdhsa.target:   amdgcn-amd-amdhsa--gfx906
amdhsa.version:
  - 1
  - 2
...

	.end_amdgpu_metadata
